;; amdgpu-corpus repo=ROCm/rocFFT kind=compiled arch=gfx906 opt=O3
	.text
	.amdgcn_target "amdgcn-amd-amdhsa--gfx906"
	.amdhsa_code_object_version 6
	.protected	fft_rtc_fwd_len192_factors_2_2_3_4_4_wgs_192_tpt_12_dim3_sp_ip_CI_unitstride_sbrr_dirReg ; -- Begin function fft_rtc_fwd_len192_factors_2_2_3_4_4_wgs_192_tpt_12_dim3_sp_ip_CI_unitstride_sbrr_dirReg
	.globl	fft_rtc_fwd_len192_factors_2_2_3_4_4_wgs_192_tpt_12_dim3_sp_ip_CI_unitstride_sbrr_dirReg
	.p2align	8
	.type	fft_rtc_fwd_len192_factors_2_2_3_4_4_wgs_192_tpt_12_dim3_sp_ip_CI_unitstride_sbrr_dirReg,@function
fft_rtc_fwd_len192_factors_2_2_3_4_4_wgs_192_tpt_12_dim3_sp_ip_CI_unitstride_sbrr_dirReg: ; @fft_rtc_fwd_len192_factors_2_2_3_4_4_wgs_192_tpt_12_dim3_sp_ip_CI_unitstride_sbrr_dirReg
; %bb.0:
	s_load_dwordx4 s[0:3], s[4:5], 0x8
	v_mul_u32_u24_e32 v1, 0x1556, v0
	v_lshrrev_b32_e32 v34, 16, v1
	v_mov_b32_e32 v1, 0
	v_lshl_add_u32 v3, s6, 4, v34
	s_waitcnt lgkmcnt(0)
	s_load_dwordx2 s[8:9], s[0:1], 0x8
	v_mov_b32_e32 v4, 0
	v_mov_b32_e32 v2, 0
	v_mov_b32_e32 v6, v2
	v_mov_b32_e32 v5, v1
	s_waitcnt lgkmcnt(0)
	v_cmp_le_u64_e32 vcc, s[8:9], v[3:4]
	s_and_saveexec_b64 s[6:7], vcc
	s_cbranch_execz .LBB0_2
; %bb.1:
	v_cvt_f32_u32_e32 v5, s8
	s_sub_i32 s10, 0, s8
	v_rcp_iflag_f32_e32 v5, v5
	v_mul_f32_e32 v5, 0x4f7ffffe, v5
	v_cvt_u32_f32_e32 v5, v5
	v_mul_lo_u32 v6, s10, v5
	v_mul_hi_u32 v6, v5, v6
	v_add_u32_e32 v5, v5, v6
	v_mul_hi_u32 v5, v3, v5
	v_mul_lo_u32 v6, v5, s8
	v_add_u32_e32 v7, 1, v5
	v_sub_u32_e32 v6, v3, v6
	v_subrev_u32_e32 v8, s8, v6
	v_cmp_le_u32_e32 vcc, s8, v6
	v_cndmask_b32_e32 v6, v6, v8, vcc
	v_cndmask_b32_e32 v5, v5, v7, vcc
	v_add_u32_e32 v7, 1, v5
	v_cmp_le_u32_e32 vcc, s8, v6
	v_cndmask_b32_e32 v5, v5, v7, vcc
	v_mov_b32_e32 v6, v4
.LBB0_2:
	s_or_b64 exec, exec, s[6:7]
	s_load_dwordx2 s[6:7], s[0:1], 0x10
	s_load_dwordx2 s[10:11], s[2:3], 0x8
	s_waitcnt lgkmcnt(0)
	v_cmp_le_u64_e32 vcc, s[6:7], v[5:6]
	s_and_saveexec_b64 s[0:1], vcc
	s_cbranch_execz .LBB0_4
; %bb.3:
	v_cvt_f32_u32_e32 v1, s6
	s_sub_i32 s12, 0, s6
	v_rcp_iflag_f32_e32 v1, v1
	v_mul_f32_e32 v1, 0x4f7ffffe, v1
	v_cvt_u32_f32_e32 v1, v1
	v_mul_lo_u32 v2, s12, v1
	v_mul_hi_u32 v2, v1, v2
	v_add_u32_e32 v1, v1, v2
	v_mul_hi_u32 v1, v5, v1
	v_mul_lo_u32 v2, v1, s6
	v_add_u32_e32 v4, 1, v1
	v_sub_u32_e32 v2, v5, v2
	v_subrev_u32_e32 v7, s6, v2
	v_cmp_le_u32_e32 vcc, s6, v2
	v_cndmask_b32_e32 v2, v2, v7, vcc
	v_cndmask_b32_e32 v1, v1, v4, vcc
	v_add_u32_e32 v4, 1, v1
	v_cmp_le_u32_e32 vcc, s6, v2
	v_cndmask_b32_e32 v1, v1, v4, vcc
	v_mov_b32_e32 v2, 0
.LBB0_4:
	s_or_b64 exec, exec, s[0:1]
	v_mad_u64_u32 v[7:8], s[0:1], v5, s8, 0
	v_mov_b32_e32 v4, v8
	v_mad_u64_u32 v[8:9], s[0:1], v5, s9, v[4:5]
	v_sub_co_u32_e32 v7, vcc, v3, v7
	v_mov_b32_e32 v4, v8
	v_subb_co_u32_e32 v8, vcc, 0, v4, vcc
	v_mad_u64_u32 v[3:4], s[0:1], v1, s6, 0
	v_mul_lo_u32 v11, s11, v7
	v_mul_lo_u32 v12, s10, v8
	v_mad_u64_u32 v[9:10], s[0:1], v1, s7, v[4:5]
	v_mad_u64_u32 v[7:8], s[0:1], s10, v7, 0
	s_load_dwordx4 s[8:11], s[2:3], 0x10
	v_mov_b32_e32 v4, v9
	v_sub_co_u32_e32 v5, vcc, v5, v3
	v_add3_u32 v8, v8, v12, v11
	v_subb_co_u32_e32 v6, vcc, v6, v4, vcc
	s_waitcnt lgkmcnt(0)
	v_mad_u64_u32 v[3:4], s[0:1], s8, v5, v[7:8]
	v_mul_lo_u32 v6, s8, v6
	v_mul_lo_u32 v5, s9, v5
                                        ; implicit-def: $sgpr8_sgpr9
	v_add3_u32 v4, v5, v4, v6
	v_mad_u64_u32 v[3:4], s[0:1], s10, v1, v[3:4]
	s_load_dwordx2 s[2:3], s[4:5], 0x48
	s_load_dwordx2 s[0:1], s[4:5], 0x18
	;; [unrolled: 1-line block ×3, first 2 shown]
	v_mad_u64_u32 v[4:5], s[4:5], s11, v1, v[4:5]
	s_movk_i32 s4, 0x1556
	s_waitcnt lgkmcnt(0)
	v_cmp_gt_u64_e32 vcc, s[0:1], v[1:2]
	v_cmp_le_u64_e64 s[0:1], s[0:1], v[1:2]
	v_mul_u32_u24_sdwa v1, v0, s4 dst_sel:DWORD dst_unused:UNUSED_PAD src0_sel:WORD_0 src1_sel:DWORD
	v_mov_b32_e32 v2, 12
	v_mul_lo_u16_sdwa v1, v1, v2 dst_sel:DWORD dst_unused:UNUSED_PAD src0_sel:WORD_1 src1_sel:DWORD
	v_sub_u16_e32 v49, v0, v1
	v_or_b32_e32 v50, 48, v49
	s_and_saveexec_b64 s[4:5], s[0:1]
	s_xor_b64 s[0:1], exec, s[4:5]
; %bb.5:
	v_or_b32_e32 v50, 48, v49
	s_mov_b64 s[8:9], 0
; %bb.6:
	s_or_saveexec_b64 s[4:5], s[0:1]
	v_mov_b32_e32 v25, s9
	v_lshlrev_b64 v[28:29], 3, v[3:4]
	v_mov_b32_e32 v13, s9
	v_mov_b32_e32 v15, s9
	;; [unrolled: 1-line block ×8, first 2 shown]
	v_lshlrev_b32_e32 v42, 3, v49
	v_mov_b32_e32 v12, s8
	v_mov_b32_e32 v14, s8
	v_mov_b32_e32 v16, s8
	v_mov_b32_e32 v18, s8
	v_mov_b32_e32 v20, s8
	v_mov_b32_e32 v22, s8
	v_mov_b32_e32 v26, s8
                                        ; implicit-def: $vgpr33
                                        ; implicit-def: $vgpr1
                                        ; implicit-def: $vgpr9
                                        ; implicit-def: $vgpr7
                                        ; implicit-def: $vgpr3
                                        ; implicit-def: $vgpr11
                                        ; implicit-def: $vgpr5
                                        ; implicit-def: $vgpr31
	s_xor_b64 exec, exec, s[4:5]
	s_cbranch_execz .LBB0_8
; %bb.7:
	v_mov_b32_e32 v0, s3
	v_add_co_u32_e64 v1, s[0:1], s2, v28
	v_addc_co_u32_e64 v0, s[0:1], v0, v29, s[0:1]
	v_add_co_u32_e64 v2, s[0:1], v1, v42
	v_addc_co_u32_e64 v3, s[0:1], 0, v0, s[0:1]
	global_load_dwordx2 v[24:25], v[2:3], off
	global_load_dwordx2 v[12:13], v[2:3], off offset:96
	global_load_dwordx2 v[14:15], v[2:3], off offset:192
	;; [unrolled: 1-line block ×14, first 2 shown]
	s_nop 0
	global_load_dwordx2 v[2:3], v[2:3], off offset:1440
.LBB0_8:
	s_or_b64 exec, exec, s[4:5]
	v_and_b32_e32 v34, 15, v34
	v_mul_u32_u24_e32 v34, 0xc0, v34
	v_lshlrev_b32_e32 v48, 3, v34
	s_waitcnt vmcnt(11)
	v_sub_f32_e32 v32, v24, v32
	v_sub_f32_e32 v33, v25, v33
	v_add_u32_e32 v37, 0, v48
	v_fma_f32 v24, v24, 2.0, -v32
	v_fma_f32 v25, v25, 2.0, -v33
	v_lshl_add_u32 v34, v49, 4, v37
	ds_write2_b64 v34, v[24:25], v[32:33] offset1:1
	s_waitcnt vmcnt(10)
	v_sub_f32_e32 v24, v12, v30
	v_sub_f32_e32 v25, v13, v31
	v_add_u32_e32 v51, 12, v49
	v_fma_f32 v12, v12, 2.0, -v24
	v_fma_f32 v13, v13, 2.0, -v25
	s_waitcnt vmcnt(9)
	v_sub_f32_e32 v0, v14, v0
	v_sub_f32_e32 v1, v15, v1
	v_lshl_add_u32 v30, v51, 4, v37
	v_add_u32_e32 v44, 24, v49
	v_fma_f32 v14, v14, 2.0, -v0
	v_fma_f32 v15, v15, 2.0, -v1
	s_waitcnt vmcnt(8)
	v_sub_f32_e32 v4, v16, v4
	v_sub_f32_e32 v5, v17, v5
	ds_write2_b64 v30, v[12:13], v[24:25] offset1:1
	v_lshl_add_u32 v12, v44, 4, v37
	v_add_u32_e32 v43, 36, v49
	v_fma_f32 v16, v16, 2.0, -v4
	v_fma_f32 v17, v17, 2.0, -v5
	s_waitcnt vmcnt(3)
	v_sub_f32_e32 v8, v18, v8
	v_sub_f32_e32 v9, v19, v9
	ds_write2_b64 v12, v[14:15], v[0:1] offset1:1
	v_lshl_add_u32 v0, v43, 4, v37
	v_fma_f32 v18, v18, 2.0, -v8
	v_fma_f32 v19, v19, 2.0, -v9
	s_waitcnt vmcnt(2)
	v_sub_f32_e32 v10, v20, v10
	v_sub_f32_e32 v11, v21, v11
	ds_write2_b64 v0, v[16:17], v[4:5] offset1:1
	v_lshl_add_u32 v0, v50, 4, v37
	v_add_u32_e32 v38, 60, v49
	v_fma_f32 v20, v20, 2.0, -v10
	v_fma_f32 v21, v21, 2.0, -v11
	s_waitcnt vmcnt(1)
	v_sub_f32_e32 v6, v22, v6
	v_sub_f32_e32 v7, v23, v7
	ds_write2_b64 v0, v[18:19], v[8:9] offset1:1
	v_lshl_add_u32 v0, v38, 4, v37
	v_add_u32_e32 v39, 0x48, v49
	;; [unrolled: 8-line block ×3, first 2 shown]
	v_fma_f32 v26, v26, 2.0, -v2
	v_fma_f32 v27, v27, 2.0, -v3
	ds_write2_b64 v0, v[22:23], v[6:7] offset1:1
	v_lshl_add_u32 v0, v40, 4, v37
	v_and_b32_e32 v41, 1, v49
	ds_write2_b64 v0, v[26:27], v[2:3] offset1:1
	v_lshlrev_b32_e32 v0, 3, v41
	s_waitcnt lgkmcnt(0)
	s_barrier
	global_load_dwordx2 v[24:25], v0, s[6:7]
	v_add3_u32 v47, 0, v42, v48
	v_add_u32_e32 v8, 0x400, v47
	v_add_u32_e32 v46, v37, v42
	v_lshl_add_u32 v45, v50, 3, v37
	ds_read2_b64 v[0:3], v47 offset0:96 offset1:108
	ds_read_b64 v[26:27], v46
	ds_read2_b64 v[4:7], v47 offset0:12 offset1:24
	ds_read_b64 v[30:31], v45
	ds_read_b64 v[32:33], v47 offset:1344
	ds_read2_b32 v[35:36], v8 offset0:104 offset1:105
	ds_read2_b64 v[8:11], v47 offset0:120 offset1:132
	ds_read2_b64 v[12:15], v47 offset0:36 offset1:60
	;; [unrolled: 1-line block ×4, first 2 shown]
	s_waitcnt vmcnt(0) lgkmcnt(0)
	s_barrier
	s_movk_i32 s0, 0x7c
	s_movk_i32 s1, 0xbc
	v_mul_f32_e32 v34, v25, v1
	v_mul_f32_e32 v52, v25, v0
	v_fma_f32 v0, v24, v0, -v34
	v_fmac_f32_e32 v52, v24, v1
	v_lshlrev_b32_e32 v34, 1, v49
	v_sub_f32_e32 v0, v26, v0
	v_sub_f32_e32 v1, v27, v52
	v_and_or_b32 v52, v34, 28, v41
	v_fma_f32 v26, v26, 2.0, -v0
	v_fma_f32 v27, v27, 2.0, -v1
	v_lshl_add_u32 v52, v52, 3, v37
	ds_write2_b64 v52, v[26:27], v[0:1] offset1:2
	v_mul_f32_e32 v0, v25, v3
	v_fma_f32 v0, v24, v2, -v0
	v_mul_f32_e32 v1, v25, v2
	v_sub_f32_e32 v0, v4, v0
	v_fmac_f32_e32 v1, v24, v3
	v_fma_f32 v2, v4, 2.0, -v0
	v_lshlrev_b32_e32 v4, 1, v51
	v_sub_f32_e32 v1, v5, v1
	v_and_or_b32 v4, v4, 60, v41
	v_fma_f32 v3, v5, 2.0, -v1
	v_lshl_add_u32 v4, v4, 3, v37
	ds_write2_b64 v4, v[2:3], v[0:1] offset1:2
	v_mul_f32_e32 v0, v25, v9
	v_mul_f32_e32 v1, v25, v8
	v_fma_f32 v0, v24, v8, -v0
	v_fmac_f32_e32 v1, v24, v9
	v_lshlrev_b32_e32 v4, 1, v44
	v_sub_f32_e32 v0, v6, v0
	v_sub_f32_e32 v1, v7, v1
	v_and_or_b32 v4, v4, s0, v41
	v_fma_f32 v2, v6, 2.0, -v0
	v_fma_f32 v3, v7, 2.0, -v1
	v_lshl_add_u32 v4, v4, 3, v37
	ds_write2_b64 v4, v[2:3], v[0:1] offset1:2
	v_mul_f32_e32 v0, v25, v11
	v_mul_f32_e32 v1, v25, v10
	v_fma_f32 v0, v24, v10, -v0
	v_fmac_f32_e32 v1, v24, v11
	v_lshlrev_b32_e32 v4, 1, v43
	v_sub_f32_e32 v0, v12, v0
	v_sub_f32_e32 v1, v13, v1
	v_and_or_b32 v4, v4, s0, v41
	v_fma_f32 v2, v12, 2.0, -v0
	v_fma_f32 v3, v13, 2.0, -v1
	v_lshl_add_u32 v4, v4, 3, v37
	ds_write2_b64 v4, v[2:3], v[0:1] offset1:2
	v_mul_f32_e32 v0, v25, v17
	v_fma_f32 v12, v24, v16, -v0
	v_mul_f32_e32 v13, v25, v16
	v_mul_f32_e32 v0, v25, v19
	;; [unrolled: 1-line block ×4, first 2 shown]
	v_fmac_f32_e32 v13, v24, v17
	v_fma_f32 v0, v24, v18, -v0
	v_fmac_f32_e32 v1, v24, v19
	v_fma_f32 v6, v24, v32, -v2
	v_mul_f32_e32 v2, v36, v25
	v_lshlrev_b32_e32 v16, 1, v50
	v_fma_f32 v8, v24, v35, -v2
	v_sub_f32_e32 v2, v14, v0
	v_sub_f32_e32 v3, v15, v1
	;; [unrolled: 1-line block ×4, first 2 shown]
	v_and_or_b32 v16, v16, s0, v41
	v_fma_f32 v4, v14, 2.0, -v2
	v_fma_f32 v5, v15, 2.0, -v3
	;; [unrolled: 1-line block ×4, first 2 shown]
	v_lshlrev_b32_e32 v17, 1, v38
	v_lshl_add_u32 v16, v16, 3, v37
	s_movk_i32 s0, 0xfc
	v_mul_f32_e32 v7, v25, v32
	ds_write2_b64 v16, v[14:15], v[12:13] offset1:2
	v_and_or_b32 v12, v17, s0, v41
	v_fmac_f32_e32 v7, v24, v33
	v_mul_f32_e32 v9, v25, v35
	v_lshlrev_b32_e32 v18, 1, v39
	v_lshl_add_u32 v12, v12, 3, v37
	v_fmac_f32_e32 v9, v36, v24
	v_sub_f32_e32 v6, v20, v6
	v_sub_f32_e32 v7, v21, v7
	ds_write2_b64 v12, v[4:5], v[2:3] offset1:2
	v_and_or_b32 v2, v18, s1, v41
	v_sub_f32_e32 v0, v22, v8
	v_sub_f32_e32 v1, v23, v9
	v_fma_f32 v8, v20, 2.0, -v6
	v_fma_f32 v9, v21, 2.0, -v7
	v_lshlrev_b32_e32 v19, 1, v40
	v_lshl_add_u32 v2, v2, 3, v37
	ds_write2_b64 v2, v[8:9], v[6:7] offset1:2
	v_and_or_b32 v2, v19, s0, v41
	v_fma_f32 v10, v22, 2.0, -v0
	v_fma_f32 v11, v23, 2.0, -v1
	v_lshl_add_u32 v2, v2, 3, v37
	ds_write2_b64 v2, v[10:11], v[0:1] offset1:2
	s_waitcnt lgkmcnt(0)
	s_barrier
	ds_read_b64 v[38:39], v46
	ds_read2_b64 v[4:7], v47 offset0:36 offset1:64
	ds_read2_b64 v[20:23], v47 offset0:128 offset1:140
	;; [unrolled: 1-line block ×3, first 2 shown]
	ds_read_b64 v[32:33], v45
	ds_read_b64 v[40:41], v47 offset:1408
	ds_read2_b64 v[24:27], v47 offset0:76 offset1:88
	ds_read2_b64 v[16:19], v47 offset0:152 offset1:164
	;; [unrolled: 1-line block ×3, first 2 shown]
	v_cmp_gt_u16_e64 s[0:1], 4, v49
                                        ; implicit-def: $vgpr31
	s_and_saveexec_b64 s[4:5], s[0:1]
	s_cbranch_execz .LBB0_10
; %bb.9:
	ds_read2_b64 v[0:3], v47 offset0:60 offset1:124
	ds_read_b64 v[30:31], v47 offset:1504
.LBB0_10:
	s_or_b64 exec, exec, s[4:5]
	v_and_b32_e32 v55, 3, v49
	v_and_b32_e32 v34, 6, v34
	v_lshlrev_b32_e32 v35, 4, v55
	v_lshlrev_b32_e32 v52, 3, v34
	global_load_dword v53, v35, s[6:7] offset:16
	s_nop 0
	global_load_dwordx2 v[34:35], v52, s[6:7] offset:16
	s_waitcnt vmcnt(0) lgkmcnt(7)
	v_mul_f32_e32 v36, v35, v7
	v_mul_f32_e32 v56, v35, v6
	v_fma_f32 v54, v53, v6, -v36
	v_fmac_f32_e32 v56, v53, v7
	global_load_dwordx2 v[36:37], v52, s[6:7] offset:20
	global_load_dwordx2 v[6:7], v52, s[6:7] offset:24
	s_waitcnt lgkmcnt(0)
	v_mul_f32_e32 v60, v35, v12
	v_fmac_f32_e32 v60, v53, v13
	s_waitcnt vmcnt(0)
	s_barrier
	v_mul_f32_e32 v57, v7, v21
	v_fma_f32 v57, v37, v20, -v57
	v_mul_f32_e32 v20, v7, v20
	v_fmac_f32_e32 v20, v37, v21
	v_mul_f32_e32 v21, v35, v25
	v_fma_f32 v21, v53, v24, -v21
	v_mul_f32_e32 v24, v35, v24
	v_fmac_f32_e32 v24, v53, v25
	;; [unrolled: 4-line block ×4, first 2 shown]
	v_mul_f32_e32 v27, v7, v17
	v_fma_f32 v27, v37, v16, -v27
	v_mul_f32_e32 v58, v7, v16
	v_mul_f32_e32 v16, v35, v13
	v_fma_f32 v59, v53, v12, -v16
	v_mul_f32_e32 v12, v7, v19
	v_fma_f32 v61, v37, v18, -v12
	v_mul_f32_e32 v12, v35, v15
	v_mul_f32_e32 v62, v7, v18
	v_fma_f32 v63, v53, v14, -v12
	v_mul_f32_e32 v12, v7, v41
	v_mul_f32_e32 v65, v7, v40
	v_add_f32_e32 v7, v38, v54
	v_fma_f32 v64, v37, v40, -v12
	v_add_f32_e32 v12, v7, v57
	v_add_f32_e32 v7, v54, v57
	v_fma_f32 v38, -0.5, v7, v38
	v_mul_f32_e32 v35, v35, v14
	v_sub_f32_e32 v7, v56, v20
	v_mov_b32_e32 v14, v38
	v_fmac_f32_e32 v14, 0x3f5db3d7, v7
	v_fmac_f32_e32 v38, 0xbf5db3d7, v7
	v_add_f32_e32 v7, v39, v56
	v_add_f32_e32 v13, v7, v20
	;; [unrolled: 1-line block ×3, first 2 shown]
	v_fmac_f32_e32 v39, -0.5, v7
	v_add_f32_e32 v16, v21, v25
	v_fmac_f32_e32 v58, v37, v17
	v_fmac_f32_e32 v35, v53, v15
	v_sub_f32_e32 v7, v54, v57
	v_mov_b32_e32 v15, v39
	v_fma_f32 v16, -0.5, v16, v8
	v_add_f32_e32 v17, v24, v22
	v_fmac_f32_e32 v15, 0xbf5db3d7, v7
	v_fmac_f32_e32 v39, 0x3f5db3d7, v7
	v_add_f32_e32 v7, v8, v21
	v_sub_f32_e32 v8, v24, v22
	v_mov_b32_e32 v18, v16
	v_fma_f32 v17, -0.5, v17, v9
	v_fmac_f32_e32 v62, v37, v19
	v_fmac_f32_e32 v18, 0x3f5db3d7, v8
	;; [unrolled: 1-line block ×3, first 2 shown]
	v_add_f32_e32 v8, v9, v24
	v_sub_f32_e32 v9, v21, v25
	v_mov_b32_e32 v19, v17
	v_fmac_f32_e32 v19, 0xbf5db3d7, v9
	v_fmac_f32_e32 v17, 0x3f5db3d7, v9
	v_add_f32_e32 v9, v10, v23
	v_add_f32_e32 v20, v9, v27
	;; [unrolled: 1-line block ×3, first 2 shown]
	v_fma_f32 v10, -0.5, v9, v10
	v_add_f32_e32 v8, v8, v22
	v_sub_f32_e32 v9, v26, v58
	v_mov_b32_e32 v22, v10
	v_fmac_f32_e32 v22, 0x3f5db3d7, v9
	v_fmac_f32_e32 v10, 0xbf5db3d7, v9
	v_add_f32_e32 v9, v11, v26
	v_add_f32_e32 v21, v9, v58
	;; [unrolled: 1-line block ×3, first 2 shown]
	v_fmac_f32_e32 v11, -0.5, v9
	v_sub_f32_e32 v9, v23, v27
	v_mov_b32_e32 v23, v11
	v_fmac_f32_e32 v23, 0xbf5db3d7, v9
	v_fmac_f32_e32 v11, 0x3f5db3d7, v9
	v_add_f32_e32 v9, v4, v59
	v_add_f32_e32 v24, v9, v61
	;; [unrolled: 1-line block ×3, first 2 shown]
	v_fma_f32 v4, -0.5, v9, v4
	v_sub_f32_e32 v9, v60, v62
	v_mov_b32_e32 v26, v4
	v_fmac_f32_e32 v26, 0x3f5db3d7, v9
	v_fmac_f32_e32 v4, 0xbf5db3d7, v9
	v_add_f32_e32 v9, v5, v60
	v_add_f32_e32 v7, v7, v25
	;; [unrolled: 1-line block ×4, first 2 shown]
	v_fmac_f32_e32 v5, -0.5, v9
	v_sub_f32_e32 v9, v59, v61
	v_mov_b32_e32 v27, v5
	v_fmac_f32_e32 v27, 0xbf5db3d7, v9
	v_fmac_f32_e32 v5, 0x3f5db3d7, v9
	v_add_f32_e32 v9, v32, v63
	v_add_f32_e32 v40, v9, v64
	;; [unrolled: 1-line block ×3, first 2 shown]
	v_fmac_f32_e32 v65, v37, v41
	v_fma_f32 v32, -0.5, v9, v32
	v_sub_f32_e32 v9, v35, v65
	v_mov_b32_e32 v53, v32
	v_fmac_f32_e32 v53, 0x3f5db3d7, v9
	v_fmac_f32_e32 v32, 0xbf5db3d7, v9
	v_add_f32_e32 v9, v33, v35
	v_add_f32_e32 v41, v9, v65
	v_add_f32_e32 v9, v35, v65
	v_fmac_f32_e32 v33, -0.5, v9
	v_sub_f32_e32 v9, v63, v64
	v_mov_b32_e32 v54, v33
	v_fmac_f32_e32 v54, 0xbf5db3d7, v9
	v_fmac_f32_e32 v33, 0x3f5db3d7, v9
	v_lshrrev_b32_e32 v9, 2, v49
	v_mul_u32_u24_e32 v9, 12, v9
	v_or_b32_e32 v9, v9, v55
	v_lshlrev_b32_e32 v9, 3, v9
	v_add3_u32 v9, 0, v9, v48
	ds_write2_b64 v9, v[12:13], v[14:15] offset1:4
	ds_write_b64 v9, v[38:39] offset:64
	v_lshrrev_b32_e32 v9, 2, v51
	v_mul_u32_u24_e32 v9, 12, v9
	v_or_b32_e32 v9, v9, v55
	v_lshlrev_b32_e32 v9, 3, v9
	v_add3_u32 v9, 0, v9, v48
	ds_write2_b64 v9, v[7:8], v[18:19] offset1:4
	ds_write_b64 v9, v[16:17] offset:64
	;; [unrolled: 7-line block ×4, first 2 shown]
	v_lshrrev_b32_e32 v4, 2, v50
	v_mul_lo_u32 v4, v4, 12
	v_or_b32_e32 v4, v4, v55
	v_lshlrev_b32_e32 v4, 3, v4
	v_add3_u32 v4, 0, v4, v48
	ds_write2_b64 v4, v[40:41], v[53:54] offset1:4
	ds_write_b64 v4, v[32:33] offset:64
	s_and_saveexec_b64 s[4:5], s[0:1]
	s_cbranch_execz .LBB0_12
; %bb.11:
	v_mov_b32_e32 v5, s7
	v_add_co_u32_e64 v4, s[0:1], s6, v52
	v_addc_co_u32_e64 v5, s[0:1], 0, v5, s[0:1]
	global_load_dword v4, v[4:5], off offset:28
	v_mul_f32_e32 v5, v3, v36
	v_mul_f32_e32 v7, v2, v36
	v_fma_f32 v2, v2, v34, -v5
	v_fmac_f32_e32 v7, v3, v34
	v_add_f32_e32 v3, v1, v7
	v_add_f32_e32 v5, v0, v2
	s_waitcnt vmcnt(0)
	v_mul_f32_e32 v8, v31, v4
	v_mul_f32_e32 v4, v30, v4
	v_fma_f32 v8, v30, v6, -v8
	v_fmac_f32_e32 v4, v31, v6
	v_add_f32_e32 v9, v7, v4
	v_add_f32_e32 v10, v2, v8
	v_sub_f32_e32 v6, v2, v8
	v_sub_f32_e32 v7, v7, v4
	v_fma_f32 v1, -0.5, v9, v1
	v_fma_f32 v0, -0.5, v10, v0
	v_add_f32_e32 v3, v3, v4
	v_add_f32_e32 v2, v5, v8
	v_mov_b32_e32 v5, v1
	v_fmac_f32_e32 v1, 0xbf5db3d7, v6
	v_mov_b32_e32 v4, v0
	v_fmac_f32_e32 v0, 0x3f5db3d7, v7
	v_fmac_f32_e32 v5, 0x3f5db3d7, v6
	;; [unrolled: 1-line block ×3, first 2 shown]
	ds_write2_b64 v47, v[2:3], v[0:1] offset0:180 offset1:184
	ds_write_b64 v47, v[4:5] offset:1504
.LBB0_12:
	s_or_b64 exec, exec, s[4:5]
	v_mul_u32_u24_e32 v0, 3, v49
	s_movk_i32 s0, 0xab
	v_lshlrev_b32_e32 v0, 3, v0
	v_mul_lo_u16_sdwa v5, v44, s0 dst_sel:DWORD dst_unused:UNUSED_PAD src0_sel:BYTE_0 src1_sel:DWORD
	s_waitcnt lgkmcnt(0)
	s_barrier
	global_load_dwordx2 v[25:26], v0, s[6:7] offset:96
	global_load_dwordx4 v[1:4], v0, s[6:7] offset:80
	v_lshrrev_b16_e32 v5, 11, v5
	v_mul_lo_u16_e32 v5, 12, v5
	v_mul_lo_u16_sdwa v10, v43, s0 dst_sel:DWORD dst_unused:UNUSED_PAD src0_sel:BYTE_0 src1_sel:DWORD
	v_mov_b32_e32 v27, 3
	v_sub_u16_e32 v57, v44, v5
	v_lshrrev_b16_e32 v10, 11, v10
	v_mul_u32_u24_sdwa v5, v57, v27 dst_sel:DWORD dst_unused:UNUSED_PAD src0_sel:BYTE_0 src1_sel:DWORD
	v_mul_lo_u16_e32 v10, 12, v10
	v_lshlrev_b32_e32 v9, 3, v5
	v_sub_u16_e32 v58, v43, v10
	global_load_dwordx4 v[5:8], v9, s[6:7] offset:80
	global_load_dwordx2 v[38:39], v9, s[6:7] offset:96
	v_mul_u32_u24_sdwa v10, v58, v27 dst_sel:DWORD dst_unused:UNUSED_PAD src0_sel:BYTE_0 src1_sel:DWORD
	v_lshlrev_b32_e32 v13, 3, v10
	global_load_dwordx4 v[9:12], v13, s[6:7] offset:80
	global_load_dwordx2 v[40:41], v13, s[6:7] offset:96
	ds_read_b64 v[49:50], v45
	ds_read2_b64 v[13:16], v47 offset0:144 offset1:156
	ds_read2_b64 v[17:20], v47 offset0:12 offset1:24
	;; [unrolled: 1-line block ×3, first 2 shown]
	ds_read_b64 v[51:52], v46
	ds_read_b64 v[53:54], v47 offset:768
	ds_read2_b32 v[55:56], v47 offset0:216 offset1:217
	ds_read2_b64 v[30:33], v47 offset0:72 offset1:84
	ds_read2_b64 v[34:37], v47 offset0:120 offset1:132
	s_waitcnt vmcnt(5) lgkmcnt(7)
	v_mul_f32_e32 v59, v26, v14
	v_mul_f32_e32 v60, v26, v13
	;; [unrolled: 1-line block ×4, first 2 shown]
	v_fma_f32 v59, v25, v13, -v59
	v_fmac_f32_e32 v60, v25, v14
	v_fma_f32 v61, v15, v25, -v61
	v_fmac_f32_e32 v26, v16, v25
	s_waitcnt vmcnt(4)
	v_mul_f32_e32 v25, v2, v50
	v_mul_f32_e32 v62, v2, v49
	v_fma_f32 v25, v1, v49, -v25
	s_waitcnt lgkmcnt(3)
	v_mul_f32_e32 v49, v4, v54
	ds_read2_b64 v[13:16], v47 offset0:168 offset1:180
	v_fmac_f32_e32 v62, v1, v50
	v_mul_f32_e32 v50, v4, v53
	v_fma_f32 v49, v3, v53, -v49
	s_waitcnt lgkmcnt(3)
	v_mul_f32_e32 v53, v56, v4
	v_fmac_f32_e32 v50, v3, v54
	v_mul_f32_e32 v54, v4, v55
	v_fma_f32 v53, v3, v55, -v53
	v_mul_f32_e32 v55, v2, v23
	v_fmac_f32_e32 v54, v56, v3
	v_mul_f32_e32 v3, v2, v24
	v_fmac_f32_e32 v55, v1, v24
	v_sub_f32_e32 v24, v51, v49
	v_sub_f32_e32 v49, v52, v50
	v_fma_f32 v23, v1, v23, -v3
	v_fma_f32 v3, v51, 2.0, -v24
	v_fma_f32 v4, v52, 2.0, -v49
	s_waitcnt vmcnt(3) lgkmcnt(2)
	v_mul_f32_e32 v51, v30, v6
	s_waitcnt lgkmcnt(1)
	v_mul_f32_e32 v2, v35, v8
	v_mul_f32_e32 v52, v34, v8
	;; [unrolled: 1-line block ×3, first 2 shown]
	v_fmac_f32_e32 v51, v31, v5
	v_fma_f32 v31, v34, v7, -v2
	v_fmac_f32_e32 v52, v35, v7
	s_waitcnt vmcnt(1)
	v_mul_f32_e32 v2, v33, v10
	v_mul_f32_e32 v35, v32, v10
	v_sub_f32_e32 v50, v25, v59
	v_sub_f32_e32 v56, v62, v60
	v_fma_f32 v30, v30, v5, -v1
	s_waitcnt lgkmcnt(0)
	v_mul_f32_e32 v1, v14, v39
	v_mul_f32_e32 v34, v13, v39
	v_fma_f32 v32, v32, v9, -v2
	v_fmac_f32_e32 v35, v33, v9
	v_mul_f32_e32 v2, v37, v12
	v_mul_f32_e32 v33, v36, v12
	s_waitcnt vmcnt(0)
	v_mul_f32_e32 v5, v16, v41
	v_mul_f32_e32 v39, v15, v41
	v_fma_f32 v41, v13, v38, -v1
	v_fmac_f32_e32 v34, v14, v38
	v_fma_f32 v36, v36, v11, -v2
	v_fmac_f32_e32 v33, v37, v11
	;; [unrolled: 2-line block ×3, first 2 shown]
	v_fma_f32 v1, v25, 2.0, -v50
	v_fma_f32 v2, v62, 2.0, -v56
	v_sub_f32_e32 v5, v24, v56
	v_sub_f32_e32 v15, v17, v53
	;; [unrolled: 1-line block ×7, first 2 shown]
	v_add_f32_e32 v6, v49, v50
	v_fma_f32 v7, v24, 2.0, -v5
	v_fma_f32 v11, v17, 2.0, -v15
	;; [unrolled: 1-line block ×5, first 2 shown]
	v_sub_f32_e32 v25, v19, v31
	v_sub_f32_e32 v26, v20, v52
	;; [unrolled: 1-line block ×4, first 2 shown]
	v_fma_f32 v3, v3, 2.0, -v1
	v_fma_f32 v4, v4, 2.0, -v2
	;; [unrolled: 1-line block ×3, first 2 shown]
	v_sub_f32_e32 v9, v11, v9
	v_sub_f32_e32 v10, v12, v10
	;; [unrolled: 1-line block ×3, first 2 shown]
	v_add_f32_e32 v14, v16, v14
	v_fma_f32 v19, v19, 2.0, -v25
	v_fma_f32 v20, v20, 2.0, -v26
	;; [unrolled: 1-line block ×8, first 2 shown]
	v_sub_f32_e32 v17, v19, v17
	v_sub_f32_e32 v18, v20, v18
	;; [unrolled: 1-line block ×3, first 2 shown]
	v_add_f32_e32 v24, v26, v24
	v_sub_f32_e32 v34, v21, v36
	v_sub_f32_e32 v36, v22, v33
	;; [unrolled: 1-line block ×4, first 2 shown]
	s_barrier
	ds_write2_b64 v47, v[3:4], v[7:8] offset1:12
	ds_write2_b64 v47, v[1:2], v[5:6] offset0:24 offset1:36
	ds_write_b64 v45, v[11:12]
	ds_write2_b64 v47, v[15:16], v[9:10] offset0:60 offset1:72
	ds_write_b64 v47, v[13:14] offset:672
	v_lshlrev_b32_sdwa v1, v27, v57 dst_sel:DWORD dst_unused:UNUSED_PAD src0_sel:DWORD src1_sel:BYTE_0
	v_fma_f32 v19, v19, 2.0, -v17
	v_fma_f32 v20, v20, 2.0, -v18
	;; [unrolled: 1-line block ×8, first 2 shown]
	v_add3_u32 v1, 0, v1, v48
	v_sub_f32_e32 v21, v30, v21
	v_sub_f32_e32 v22, v31, v22
	;; [unrolled: 1-line block ×3, first 2 shown]
	v_add_f32_e32 v33, v36, v33
	ds_write2_b64 v1, v[19:20], v[25:26] offset0:96 offset1:108
	ds_write2_b64 v1, v[17:18], v[23:24] offset0:120 offset1:132
	v_lshlrev_b32_sdwa v1, v27, v58 dst_sel:DWORD dst_unused:UNUSED_PAD src0_sel:DWORD src1_sel:BYTE_0
	v_fma_f32 v30, v30, 2.0, -v21
	v_fma_f32 v31, v31, 2.0, -v22
	;; [unrolled: 1-line block ×4, first 2 shown]
	v_add3_u32 v1, 0, v1, v48
	ds_write2_b64 v1, v[30:31], v[34:35] offset0:144 offset1:156
	ds_write2_b64 v1, v[21:22], v[32:33] offset0:168 offset1:180
	s_waitcnt lgkmcnt(0)
	s_barrier
	s_and_saveexec_b64 s[0:1], vcc
	s_cbranch_execz .LBB0_14
; %bb.13:
	v_mul_u32_u24_e32 v1, 3, v43
	v_lshlrev_b32_e32 v5, 3, v1
	global_load_dwordx4 v[1:4], v5, s[6:7] offset:368
	global_load_dwordx2 v[25:26], v5, s[6:7] offset:384
	v_not_b32_e32 v5, 35
	v_mov_b32_e32 v10, 0
	v_mad_u32_u24 v9, v43, 3, v5
	v_lshlrev_b64 v[5:6], 3, v[9:10]
	v_mov_b32_e32 v27, s7
	v_add_co_u32_e32 v11, vcc, s6, v5
	v_addc_co_u32_e32 v12, vcc, v27, v6, vcc
	global_load_dwordx4 v[5:8], v[11:12], off offset:368
	global_load_dwordx2 v[52:53], v[11:12], off offset:384
	v_mov_b32_e32 v9, 0xffffffb8
	v_mad_u32_u24 v9, v43, 3, v9
	v_lshlrev_b64 v[9:10], 3, v[9:10]
	s_mov_b32 s0, 0x5555556
	v_add_co_u32_e32 v13, vcc, s6, v9
	v_addc_co_u32_e32 v14, vcc, v27, v10, vcc
	global_load_dwordx4 v[9:12], v[13:14], off offset:368
	global_load_dwordx2 v[54:55], v[13:14], off offset:384
	v_add_co_u32_e32 v56, vcc, s6, v0
	v_addc_co_u32_e32 v57, vcc, 0, v27, vcc
	ds_read2_b64 v[13:16], v47 offset0:36 offset1:60
	ds_read2_b64 v[17:20], v47 offset0:120 offset1:132
	;; [unrolled: 1-line block ×6, first 2 shown]
	global_load_dwordx2 v[58:59], v[56:57], off offset:384
	global_load_dwordx4 v[48:51], v[56:57], off offset:368
	s_waitcnt vmcnt(7) lgkmcnt(3)
	v_mul_f32_e32 v27, v2, v24
	v_mul_f32_e32 v24, v1, v24
	v_mul_f32_e32 v0, v3, v20
	v_fmac_f32_e32 v24, v23, v2
	s_waitcnt vmcnt(6) lgkmcnt(2)
	v_mul_f32_e32 v2, v26, v33
	v_mul_f32_e32 v20, v4, v20
	v_fmac_f32_e32 v0, v4, v19
	v_fma_f32 v1, v1, v23, -v27
	v_mul_f32_e32 v4, v25, v33
	v_fma_f32 v2, v25, v32, -v2
	v_fma_f32 v3, v19, v3, -v20
	v_fmac_f32_e32 v4, v32, v26
	v_sub_f32_e32 v0, v14, v0
	v_sub_f32_e32 v2, v1, v2
	;; [unrolled: 1-line block ×4, first 2 shown]
	v_add_f32_e32 v20, v0, v2
	v_fma_f32 v1, v1, 2.0, -v2
	s_waitcnt vmcnt(5)
	v_mul_f32_e32 v2, v7, v18
	v_sub_f32_e32 v19, v3, v4
	v_fma_f32 v23, v14, 2.0, -v0
	v_fma_f32 v4, v24, 2.0, -v4
	;; [unrolled: 1-line block ×3, first 2 shown]
	v_mul_f32_e32 v13, v8, v18
	v_fmac_f32_e32 v2, v8, v17
	v_mul_f32_e32 v18, v6, v22
	s_waitcnt vmcnt(4)
	v_mul_f32_e32 v25, v53, v31
	v_mul_f32_e32 v22, v5, v22
	v_fma_f32 v8, v0, 2.0, -v20
	v_mul_f32_e32 v0, v52, v31
	v_fma_f32 v17, v17, v7, -v13
	v_fma_f32 v7, v3, 2.0, -v19
	v_sub_f32_e32 v13, v24, v1
	v_fma_f32 v1, v5, v21, -v18
	v_fma_f32 v3, v52, v30, -v25
	v_fmac_f32_e32 v22, v21, v6
	v_fmac_f32_e32 v0, v30, v53
	s_waitcnt lgkmcnt(1)
	v_sub_f32_e32 v2, v37, v2
	v_sub_f32_e32 v3, v1, v3
	;; [unrolled: 1-line block ×5, first 2 shown]
	v_add_f32_e32 v18, v2, v3
	v_sub_f32_e32 v17, v6, v0
	v_fma_f32 v25, v37, 2.0, -v2
	v_fma_f32 v0, v22, 2.0, -v0
	v_fma_f32 v27, v36, 2.0, -v6
	v_fma_f32 v1, v1, 2.0, -v3
	v_fma_f32 v5, v23, 2.0, -v14
	v_fma_f32 v4, v24, 2.0, -v13
	v_fma_f32 v22, v2, 2.0, -v18
	v_sub_f32_e32 v24, v25, v0
	v_sub_f32_e32 v23, v27, v1
	ds_read2_b64 v[0:3], v47 offset0:144 offset1:156
	v_fma_f32 v21, v6, 2.0, -v17
	v_fma_f32 v26, v25, 2.0, -v24
	;; [unrolled: 1-line block ×3, first 2 shown]
	s_waitcnt vmcnt(3) lgkmcnt(1)
	v_mul_f32_e32 v6, v11, v41
	v_mul_f32_e32 v27, v10, v16
	s_waitcnt vmcnt(2) lgkmcnt(0)
	v_mul_f32_e32 v30, v55, v3
	v_fmac_f32_e32 v6, v12, v40
	v_fma_f32 v27, v9, v15, -v27
	v_fma_f32 v30, v54, v2, -v30
	v_mul_f32_e32 v12, v12, v41
	v_mul_f32_e32 v9, v9, v16
	;; [unrolled: 1-line block ×3, first 2 shown]
	v_sub_f32_e32 v6, v35, v6
	v_sub_f32_e32 v36, v27, v30
	v_fma_f32 v11, v11, v40, -v12
	v_fmac_f32_e32 v9, v10, v15
	v_fmac_f32_e32 v3, v2, v55
	v_add_f32_e32 v31, v6, v36
	v_sub_f32_e32 v11, v34, v11
	v_sub_f32_e32 v2, v9, v3
	v_fma_f32 v33, v6, 2.0, -v31
	v_sub_f32_e32 v30, v11, v2
	v_fma_f32 v6, v35, 2.0, -v6
	v_fma_f32 v2, v9, 2.0, -v2
	v_sub_f32_e32 v3, v6, v2
	v_fma_f32 v32, v11, 2.0, -v30
	v_fma_f32 v10, v6, 2.0, -v3
	;; [unrolled: 1-line block ×3, first 2 shown]
	ds_read_b64 v[11:12], v46
	ds_read_b64 v[15:16], v45
	v_fma_f32 v2, v27, 2.0, -v36
	v_sub_f32_e32 v2, v6, v2
	s_waitcnt vmcnt(1)
	v_mul_f32_e32 v34, v59, v1
	v_fma_f32 v9, v6, 2.0, -v2
	s_waitcnt vmcnt(0) lgkmcnt(0)
	v_mul_f32_e32 v27, v49, v16
	v_mul_f32_e32 v6, v50, v39
	v_fma_f32 v27, v48, v15, -v27
	v_fma_f32 v34, v58, v0, -v34
	v_fmac_f32_e32 v6, v51, v38
	v_sub_f32_e32 v40, v27, v34
	v_mul_f32_e32 v34, v51, v39
	v_mul_f32_e32 v16, v48, v16
	;; [unrolled: 1-line block ×3, first 2 shown]
	v_sub_f32_e32 v6, v12, v6
	v_fma_f32 v34, v50, v38, -v34
	v_fmac_f32_e32 v16, v49, v15
	v_fmac_f32_e32 v1, v59, v0
	v_add_f32_e32 v35, v6, v40
	v_sub_f32_e32 v38, v11, v34
	v_sub_f32_e32 v0, v16, v1
	v_fma_f32 v37, v6, 2.0, -v35
	v_sub_f32_e32 v34, v38, v0
	v_fma_f32 v6, v12, 2.0, -v6
	v_fma_f32 v0, v16, 2.0, -v0
	v_sub_f32_e32 v1, v6, v0
	v_fma_f32 v12, v6, 2.0, -v1
	v_fma_f32 v6, v11, 2.0, -v38
	;; [unrolled: 1-line block ×3, first 2 shown]
	v_sub_f32_e32 v0, v6, v0
	v_fma_f32 v11, v6, 2.0, -v0
	v_mov_b32_e32 v6, s3
	v_add_co_u32_e32 v15, vcc, s2, v28
	v_addc_co_u32_e32 v6, vcc, v6, v29, vcc
	v_add_co_u32_e32 v15, vcc, v15, v42
	v_addc_co_u32_e32 v16, vcc, 0, v6, vcc
	v_fma_f32 v36, v38, 2.0, -v34
	global_store_dwordx2 v[15:16], v[11:12], off
	global_store_dwordx2 v[15:16], v[36:37], off offset:384
	global_store_dwordx2 v[15:16], v[0:1], off offset:768
	;; [unrolled: 1-line block ×4, first 2 shown]
	v_mul_hi_u32 v0, v44, s0
	global_store_dwordx2 v[15:16], v[32:33], off offset:480
	global_store_dwordx2 v[15:16], v[2:3], off offset:864
	;; [unrolled: 1-line block ×3, first 2 shown]
	v_mul_hi_u32 v2, v43, s0
	v_mul_u32_u24_e32 v0, 0x90, v0
	v_lshlrev_b32_e32 v0, 3, v0
	v_add_co_u32_e32 v0, vcc, v15, v0
	v_addc_co_u32_e32 v1, vcc, 0, v16, vcc
	global_store_dwordx2 v[0:1], v[25:26], off offset:192
	global_store_dwordx2 v[0:1], v[21:22], off offset:576
	;; [unrolled: 1-line block ×4, first 2 shown]
	v_mul_u32_u24_e32 v0, 0x90, v2
	v_lshlrev_b32_e32 v0, 3, v0
	v_add_co_u32_e32 v0, vcc, v15, v0
	v_addc_co_u32_e32 v1, vcc, 0, v16, vcc
	global_store_dwordx2 v[0:1], v[4:5], off offset:288
	global_store_dwordx2 v[0:1], v[7:8], off offset:672
	;; [unrolled: 1-line block ×4, first 2 shown]
.LBB0_14:
	s_endpgm
	.section	.rodata,"a",@progbits
	.p2align	6, 0x0
	.amdhsa_kernel fft_rtc_fwd_len192_factors_2_2_3_4_4_wgs_192_tpt_12_dim3_sp_ip_CI_unitstride_sbrr_dirReg
		.amdhsa_group_segment_fixed_size 0
		.amdhsa_private_segment_fixed_size 0
		.amdhsa_kernarg_size 80
		.amdhsa_user_sgpr_count 6
		.amdhsa_user_sgpr_private_segment_buffer 1
		.amdhsa_user_sgpr_dispatch_ptr 0
		.amdhsa_user_sgpr_queue_ptr 0
		.amdhsa_user_sgpr_kernarg_segment_ptr 1
		.amdhsa_user_sgpr_dispatch_id 0
		.amdhsa_user_sgpr_flat_scratch_init 0
		.amdhsa_user_sgpr_private_segment_size 0
		.amdhsa_uses_dynamic_stack 0
		.amdhsa_system_sgpr_private_segment_wavefront_offset 0
		.amdhsa_system_sgpr_workgroup_id_x 1
		.amdhsa_system_sgpr_workgroup_id_y 0
		.amdhsa_system_sgpr_workgroup_id_z 0
		.amdhsa_system_sgpr_workgroup_info 0
		.amdhsa_system_vgpr_workitem_id 0
		.amdhsa_next_free_vgpr 66
		.amdhsa_next_free_sgpr 13
		.amdhsa_reserve_vcc 1
		.amdhsa_reserve_flat_scratch 0
		.amdhsa_float_round_mode_32 0
		.amdhsa_float_round_mode_16_64 0
		.amdhsa_float_denorm_mode_32 3
		.amdhsa_float_denorm_mode_16_64 3
		.amdhsa_dx10_clamp 1
		.amdhsa_ieee_mode 1
		.amdhsa_fp16_overflow 0
		.amdhsa_exception_fp_ieee_invalid_op 0
		.amdhsa_exception_fp_denorm_src 0
		.amdhsa_exception_fp_ieee_div_zero 0
		.amdhsa_exception_fp_ieee_overflow 0
		.amdhsa_exception_fp_ieee_underflow 0
		.amdhsa_exception_fp_ieee_inexact 0
		.amdhsa_exception_int_div_zero 0
	.end_amdhsa_kernel
	.text
.Lfunc_end0:
	.size	fft_rtc_fwd_len192_factors_2_2_3_4_4_wgs_192_tpt_12_dim3_sp_ip_CI_unitstride_sbrr_dirReg, .Lfunc_end0-fft_rtc_fwd_len192_factors_2_2_3_4_4_wgs_192_tpt_12_dim3_sp_ip_CI_unitstride_sbrr_dirReg
                                        ; -- End function
	.section	.AMDGPU.csdata,"",@progbits
; Kernel info:
; codeLenInByte = 5244
; NumSgprs: 17
; NumVgprs: 66
; ScratchSize: 0
; MemoryBound: 0
; FloatMode: 240
; IeeeMode: 1
; LDSByteSize: 0 bytes/workgroup (compile time only)
; SGPRBlocks: 2
; VGPRBlocks: 16
; NumSGPRsForWavesPerEU: 17
; NumVGPRsForWavesPerEU: 66
; Occupancy: 3
; WaveLimiterHint : 1
; COMPUTE_PGM_RSRC2:SCRATCH_EN: 0
; COMPUTE_PGM_RSRC2:USER_SGPR: 6
; COMPUTE_PGM_RSRC2:TRAP_HANDLER: 0
; COMPUTE_PGM_RSRC2:TGID_X_EN: 1
; COMPUTE_PGM_RSRC2:TGID_Y_EN: 0
; COMPUTE_PGM_RSRC2:TGID_Z_EN: 0
; COMPUTE_PGM_RSRC2:TIDIG_COMP_CNT: 0
	.type	__hip_cuid_d6b60f871212d9c9,@object ; @__hip_cuid_d6b60f871212d9c9
	.section	.bss,"aw",@nobits
	.globl	__hip_cuid_d6b60f871212d9c9
__hip_cuid_d6b60f871212d9c9:
	.byte	0                               ; 0x0
	.size	__hip_cuid_d6b60f871212d9c9, 1

	.ident	"AMD clang version 19.0.0git (https://github.com/RadeonOpenCompute/llvm-project roc-6.4.0 25133 c7fe45cf4b819c5991fe208aaa96edf142730f1d)"
	.section	".note.GNU-stack","",@progbits
	.addrsig
	.addrsig_sym __hip_cuid_d6b60f871212d9c9
	.amdgpu_metadata
---
amdhsa.kernels:
  - .args:
      - .actual_access:  read_only
        .address_space:  global
        .offset:         0
        .size:           8
        .value_kind:     global_buffer
      - .actual_access:  read_only
        .address_space:  global
        .offset:         8
        .size:           8
        .value_kind:     global_buffer
      - .actual_access:  read_only
        .address_space:  global
        .offset:         16
        .size:           8
        .value_kind:     global_buffer
      - .offset:         24
        .size:           8
        .value_kind:     by_value
      - .actual_access:  read_only
        .address_space:  global
        .offset:         32
        .size:           8
        .value_kind:     global_buffer
      - .actual_access:  read_only
        .address_space:  global
        .offset:         40
        .size:           8
        .value_kind:     global_buffer
      - .offset:         48
        .size:           4
        .value_kind:     by_value
      - .actual_access:  read_only
        .address_space:  global
        .offset:         56
        .size:           8
        .value_kind:     global_buffer
      - .actual_access:  read_only
        .address_space:  global
        .offset:         64
        .size:           8
        .value_kind:     global_buffer
      - .address_space:  global
        .offset:         72
        .size:           8
        .value_kind:     global_buffer
    .group_segment_fixed_size: 0
    .kernarg_segment_align: 8
    .kernarg_segment_size: 80
    .language:       OpenCL C
    .language_version:
      - 2
      - 0
    .max_flat_workgroup_size: 192
    .name:           fft_rtc_fwd_len192_factors_2_2_3_4_4_wgs_192_tpt_12_dim3_sp_ip_CI_unitstride_sbrr_dirReg
    .private_segment_fixed_size: 0
    .sgpr_count:     17
    .sgpr_spill_count: 0
    .symbol:         fft_rtc_fwd_len192_factors_2_2_3_4_4_wgs_192_tpt_12_dim3_sp_ip_CI_unitstride_sbrr_dirReg.kd
    .uniform_work_group_size: 1
    .uses_dynamic_stack: false
    .vgpr_count:     66
    .vgpr_spill_count: 0
    .wavefront_size: 64
amdhsa.target:   amdgcn-amd-amdhsa--gfx906
amdhsa.version:
  - 1
  - 2
...

	.end_amdgpu_metadata
